;; amdgpu-corpus repo=ROCm/rocFFT kind=compiled arch=gfx906 opt=O3
	.text
	.amdgcn_target "amdgcn-amd-amdhsa--gfx906"
	.amdhsa_code_object_version 6
	.protected	fft_rtc_back_len600_factors_10_6_10_wgs_60_tpt_60_halfLds_sp_ip_CI_sbrr_dirReg ; -- Begin function fft_rtc_back_len600_factors_10_6_10_wgs_60_tpt_60_halfLds_sp_ip_CI_sbrr_dirReg
	.globl	fft_rtc_back_len600_factors_10_6_10_wgs_60_tpt_60_halfLds_sp_ip_CI_sbrr_dirReg
	.p2align	8
	.type	fft_rtc_back_len600_factors_10_6_10_wgs_60_tpt_60_halfLds_sp_ip_CI_sbrr_dirReg,@function
fft_rtc_back_len600_factors_10_6_10_wgs_60_tpt_60_halfLds_sp_ip_CI_sbrr_dirReg: ; @fft_rtc_back_len600_factors_10_6_10_wgs_60_tpt_60_halfLds_sp_ip_CI_sbrr_dirReg
; %bb.0:
	s_load_dwordx2 s[14:15], s[4:5], 0x18
	s_load_dwordx4 s[8:11], s[4:5], 0x0
	s_load_dwordx2 s[12:13], s[4:5], 0x50
	v_mul_u32_u24_e32 v1, 0x445, v0
	v_add_u32_sdwa v5, s6, v1 dst_sel:DWORD dst_unused:UNUSED_PAD src0_sel:DWORD src1_sel:WORD_1
	s_waitcnt lgkmcnt(0)
	s_load_dwordx2 s[2:3], s[14:15], 0x0
	v_cmp_lt_u64_e64 s[0:1], s[10:11], 2
	v_mov_b32_e32 v3, 0
	v_mov_b32_e32 v1, 0
	;; [unrolled: 1-line block ×3, first 2 shown]
	s_and_b64 vcc, exec, s[0:1]
	v_mov_b32_e32 v2, 0
	s_cbranch_vccnz .LBB0_8
; %bb.1:
	s_load_dwordx2 s[0:1], s[4:5], 0x10
	s_add_u32 s6, s14, 8
	s_addc_u32 s7, s15, 0
	v_mov_b32_e32 v1, 0
	v_mov_b32_e32 v2, 0
	s_waitcnt lgkmcnt(0)
	s_add_u32 s16, s0, 8
	s_addc_u32 s17, s1, 0
	s_mov_b64 s[18:19], 1
.LBB0_2:                                ; =>This Inner Loop Header: Depth=1
	s_load_dwordx2 s[20:21], s[16:17], 0x0
                                        ; implicit-def: $vgpr7_vgpr8
	s_waitcnt lgkmcnt(0)
	v_or_b32_e32 v4, s21, v6
	v_cmp_ne_u64_e32 vcc, 0, v[3:4]
	s_and_saveexec_b64 s[0:1], vcc
	s_xor_b64 s[22:23], exec, s[0:1]
	s_cbranch_execz .LBB0_4
; %bb.3:                                ;   in Loop: Header=BB0_2 Depth=1
	v_cvt_f32_u32_e32 v4, s20
	v_cvt_f32_u32_e32 v7, s21
	s_sub_u32 s0, 0, s20
	s_subb_u32 s1, 0, s21
	v_mac_f32_e32 v4, 0x4f800000, v7
	v_rcp_f32_e32 v4, v4
	v_mul_f32_e32 v4, 0x5f7ffffc, v4
	v_mul_f32_e32 v7, 0x2f800000, v4
	v_trunc_f32_e32 v7, v7
	v_mac_f32_e32 v4, 0xcf800000, v7
	v_cvt_u32_f32_e32 v7, v7
	v_cvt_u32_f32_e32 v4, v4
	v_mul_lo_u32 v8, s0, v7
	v_mul_hi_u32 v9, s0, v4
	v_mul_lo_u32 v11, s1, v4
	v_mul_lo_u32 v10, s0, v4
	v_add_u32_e32 v8, v9, v8
	v_add_u32_e32 v8, v8, v11
	v_mul_hi_u32 v9, v4, v10
	v_mul_lo_u32 v11, v4, v8
	v_mul_hi_u32 v13, v4, v8
	v_mul_hi_u32 v12, v7, v10
	v_mul_lo_u32 v10, v7, v10
	v_mul_hi_u32 v14, v7, v8
	v_add_co_u32_e32 v9, vcc, v9, v11
	v_addc_co_u32_e32 v11, vcc, 0, v13, vcc
	v_mul_lo_u32 v8, v7, v8
	v_add_co_u32_e32 v9, vcc, v9, v10
	v_addc_co_u32_e32 v9, vcc, v11, v12, vcc
	v_addc_co_u32_e32 v10, vcc, 0, v14, vcc
	v_add_co_u32_e32 v8, vcc, v9, v8
	v_addc_co_u32_e32 v9, vcc, 0, v10, vcc
	v_add_co_u32_e32 v4, vcc, v4, v8
	v_addc_co_u32_e32 v7, vcc, v7, v9, vcc
	v_mul_lo_u32 v8, s0, v7
	v_mul_hi_u32 v9, s0, v4
	v_mul_lo_u32 v10, s1, v4
	v_mul_lo_u32 v11, s0, v4
	v_add_u32_e32 v8, v9, v8
	v_add_u32_e32 v8, v8, v10
	v_mul_lo_u32 v12, v4, v8
	v_mul_hi_u32 v13, v4, v11
	v_mul_hi_u32 v14, v4, v8
	;; [unrolled: 1-line block ×3, first 2 shown]
	v_mul_lo_u32 v11, v7, v11
	v_mul_hi_u32 v9, v7, v8
	v_add_co_u32_e32 v12, vcc, v13, v12
	v_addc_co_u32_e32 v13, vcc, 0, v14, vcc
	v_mul_lo_u32 v8, v7, v8
	v_add_co_u32_e32 v11, vcc, v12, v11
	v_addc_co_u32_e32 v10, vcc, v13, v10, vcc
	v_addc_co_u32_e32 v9, vcc, 0, v9, vcc
	v_add_co_u32_e32 v8, vcc, v10, v8
	v_addc_co_u32_e32 v9, vcc, 0, v9, vcc
	v_add_co_u32_e32 v4, vcc, v4, v8
	v_addc_co_u32_e32 v9, vcc, v7, v9, vcc
	v_mad_u64_u32 v[7:8], s[0:1], v5, v9, 0
	v_mul_hi_u32 v10, v5, v4
	v_add_co_u32_e32 v11, vcc, v10, v7
	v_addc_co_u32_e32 v12, vcc, 0, v8, vcc
	v_mad_u64_u32 v[7:8], s[0:1], v6, v4, 0
	v_mad_u64_u32 v[9:10], s[0:1], v6, v9, 0
	v_add_co_u32_e32 v4, vcc, v11, v7
	v_addc_co_u32_e32 v4, vcc, v12, v8, vcc
	v_addc_co_u32_e32 v7, vcc, 0, v10, vcc
	v_add_co_u32_e32 v4, vcc, v4, v9
	v_addc_co_u32_e32 v9, vcc, 0, v7, vcc
	v_mul_lo_u32 v10, s21, v4
	v_mul_lo_u32 v11, s20, v9
	v_mad_u64_u32 v[7:8], s[0:1], s20, v4, 0
	v_add3_u32 v8, v8, v11, v10
	v_sub_u32_e32 v10, v6, v8
	v_mov_b32_e32 v11, s21
	v_sub_co_u32_e32 v7, vcc, v5, v7
	v_subb_co_u32_e64 v10, s[0:1], v10, v11, vcc
	v_subrev_co_u32_e64 v11, s[0:1], s20, v7
	v_subbrev_co_u32_e64 v10, s[0:1], 0, v10, s[0:1]
	v_cmp_le_u32_e64 s[0:1], s21, v10
	v_cndmask_b32_e64 v12, 0, -1, s[0:1]
	v_cmp_le_u32_e64 s[0:1], s20, v11
	v_cndmask_b32_e64 v11, 0, -1, s[0:1]
	v_cmp_eq_u32_e64 s[0:1], s21, v10
	v_cndmask_b32_e64 v10, v12, v11, s[0:1]
	v_add_co_u32_e64 v11, s[0:1], 2, v4
	v_addc_co_u32_e64 v12, s[0:1], 0, v9, s[0:1]
	v_add_co_u32_e64 v13, s[0:1], 1, v4
	v_addc_co_u32_e64 v14, s[0:1], 0, v9, s[0:1]
	v_subb_co_u32_e32 v8, vcc, v6, v8, vcc
	v_cmp_ne_u32_e64 s[0:1], 0, v10
	v_cmp_le_u32_e32 vcc, s21, v8
	v_cndmask_b32_e64 v10, v14, v12, s[0:1]
	v_cndmask_b32_e64 v12, 0, -1, vcc
	v_cmp_le_u32_e32 vcc, s20, v7
	v_cndmask_b32_e64 v7, 0, -1, vcc
	v_cmp_eq_u32_e32 vcc, s21, v8
	v_cndmask_b32_e32 v7, v12, v7, vcc
	v_cmp_ne_u32_e32 vcc, 0, v7
	v_cndmask_b32_e64 v7, v13, v11, s[0:1]
	v_cndmask_b32_e32 v8, v9, v10, vcc
	v_cndmask_b32_e32 v7, v4, v7, vcc
.LBB0_4:                                ;   in Loop: Header=BB0_2 Depth=1
	s_andn2_saveexec_b64 s[0:1], s[22:23]
	s_cbranch_execz .LBB0_6
; %bb.5:                                ;   in Loop: Header=BB0_2 Depth=1
	v_cvt_f32_u32_e32 v4, s20
	s_sub_i32 s22, 0, s20
	v_rcp_iflag_f32_e32 v4, v4
	v_mul_f32_e32 v4, 0x4f7ffffe, v4
	v_cvt_u32_f32_e32 v4, v4
	v_mul_lo_u32 v7, s22, v4
	v_mul_hi_u32 v7, v4, v7
	v_add_u32_e32 v4, v4, v7
	v_mul_hi_u32 v4, v5, v4
	v_mul_lo_u32 v7, v4, s20
	v_add_u32_e32 v8, 1, v4
	v_sub_u32_e32 v7, v5, v7
	v_subrev_u32_e32 v9, s20, v7
	v_cmp_le_u32_e32 vcc, s20, v7
	v_cndmask_b32_e32 v7, v7, v9, vcc
	v_cndmask_b32_e32 v4, v4, v8, vcc
	v_add_u32_e32 v8, 1, v4
	v_cmp_le_u32_e32 vcc, s20, v7
	v_cndmask_b32_e32 v7, v4, v8, vcc
	v_mov_b32_e32 v8, v3
.LBB0_6:                                ;   in Loop: Header=BB0_2 Depth=1
	s_or_b64 exec, exec, s[0:1]
	v_mul_lo_u32 v4, v8, s20
	v_mul_lo_u32 v11, v7, s21
	v_mad_u64_u32 v[9:10], s[0:1], v7, s20, 0
	s_load_dwordx2 s[0:1], s[6:7], 0x0
	s_add_u32 s18, s18, 1
	v_add3_u32 v4, v10, v11, v4
	v_sub_co_u32_e32 v5, vcc, v5, v9
	v_subb_co_u32_e32 v4, vcc, v6, v4, vcc
	s_waitcnt lgkmcnt(0)
	v_mul_lo_u32 v4, s0, v4
	v_mul_lo_u32 v6, s1, v5
	v_mad_u64_u32 v[1:2], s[0:1], s0, v5, v[1:2]
	s_addc_u32 s19, s19, 0
	s_add_u32 s6, s6, 8
	v_add3_u32 v2, v6, v2, v4
	v_mov_b32_e32 v4, s10
	v_mov_b32_e32 v5, s11
	s_addc_u32 s7, s7, 0
	v_cmp_ge_u64_e32 vcc, s[18:19], v[4:5]
	s_add_u32 s16, s16, 8
	s_addc_u32 s17, s17, 0
	s_cbranch_vccnz .LBB0_9
; %bb.7:                                ;   in Loop: Header=BB0_2 Depth=1
	v_mov_b32_e32 v5, v7
	v_mov_b32_e32 v6, v8
	s_branch .LBB0_2
.LBB0_8:
	v_mov_b32_e32 v8, v6
	v_mov_b32_e32 v7, v5
.LBB0_9:
	s_lshl_b64 s[0:1], s[10:11], 3
	s_add_u32 s0, s14, s0
	s_addc_u32 s1, s15, s1
	s_load_dwordx2 s[6:7], s[0:1], 0x0
	s_load_dwordx2 s[10:11], s[4:5], 0x20
	s_waitcnt lgkmcnt(0)
	v_mad_u64_u32 v[1:2], s[0:1], s6, v7, v[1:2]
	s_mov_b32 s0, 0x4444445
	v_mul_lo_u32 v3, s6, v8
	v_mul_lo_u32 v4, s7, v7
	v_mul_hi_u32 v5, v0, s0
	v_cmp_gt_u64_e32 vcc, s[10:11], v[7:8]
	v_cmp_le_u64_e64 s[0:1], s[10:11], v[7:8]
	v_add3_u32 v2, v4, v2, v3
	v_mul_u32_u24_e32 v3, 60, v5
	v_sub_u32_e32 v35, v0, v3
	v_add_u32_e32 v36, 60, v35
                                        ; implicit-def: $sgpr6
	s_and_saveexec_b64 s[4:5], s[0:1]
	s_xor_b64 s[0:1], exec, s[4:5]
; %bb.10:
	v_add_u32_e32 v36, 60, v35
	s_mov_b32 s6, 0
; %bb.11:
	s_or_saveexec_b64 s[4:5], s[0:1]
	v_lshlrev_b64 v[0:1], 3, v[1:2]
	v_mov_b32_e32 v34, s6
                                        ; implicit-def: $vgpr13
                                        ; implicit-def: $vgpr19
                                        ; implicit-def: $vgpr9
                                        ; implicit-def: $vgpr17
                                        ; implicit-def: $vgpr11
                                        ; implicit-def: $vgpr23
                                        ; implicit-def: $vgpr15
                                        ; implicit-def: $vgpr21
                                        ; implicit-def: $vgpr7
                                        ; implicit-def: $vgpr5
	s_xor_b64 exec, exec, s[4:5]
	s_cbranch_execz .LBB0_13
; %bb.12:
	v_mad_u64_u32 v[2:3], s[0:1], s2, v35, 0
	v_mov_b32_e32 v6, s13
	v_add_u32_e32 v8, 0x78, v35
	v_mad_u64_u32 v[3:4], s[0:1], s3, v35, v[3:4]
	v_mad_u64_u32 v[4:5], s[0:1], s2, v36, 0
	v_add_co_u32_e64 v12, s[0:1], s12, v0
	v_addc_co_u32_e64 v13, s[0:1], v6, v1, s[0:1]
	v_mad_u64_u32 v[5:6], s[0:1], s3, v36, v[5:6]
	v_mad_u64_u32 v[6:7], s[0:1], s2, v8, 0
	v_lshlrev_b64 v[2:3], 3, v[2:3]
	v_add_u32_e32 v10, 0xb4, v35
	v_add_co_u32_e64 v2, s[0:1], v12, v2
	v_addc_co_u32_e64 v3, s[0:1], v13, v3, s[0:1]
	v_mad_u64_u32 v[7:8], s[0:1], s3, v8, v[7:8]
	v_mad_u64_u32 v[8:9], s[0:1], s2, v10, 0
	v_lshlrev_b64 v[4:5], 3, v[4:5]
	v_mov_b32_e32 v34, v35
	v_add_co_u32_e64 v24, s[0:1], v12, v4
	v_addc_co_u32_e64 v25, s[0:1], v13, v5, s[0:1]
	v_lshlrev_b64 v[4:5], 3, v[6:7]
	v_mov_b32_e32 v6, v9
	v_mad_u64_u32 v[6:7], s[0:1], s3, v10, v[6:7]
	v_add_u32_e32 v7, 0xf0, v35
	v_mad_u64_u32 v[10:11], s[0:1], s2, v7, 0
	v_add_co_u32_e64 v26, s[0:1], v12, v4
	v_mov_b32_e32 v9, v6
	v_mov_b32_e32 v6, v11
	v_addc_co_u32_e64 v27, s[0:1], v13, v5, s[0:1]
	v_lshlrev_b64 v[4:5], 3, v[8:9]
	v_mad_u64_u32 v[6:7], s[0:1], s3, v7, v[6:7]
	v_add_u32_e32 v9, 0x12c, v35
	v_mad_u64_u32 v[7:8], s[0:1], s2, v9, 0
	v_add_co_u32_e64 v28, s[0:1], v12, v4
	v_mov_b32_e32 v11, v6
	v_mov_b32_e32 v6, v8
	v_addc_co_u32_e64 v29, s[0:1], v13, v5, s[0:1]
	v_lshlrev_b64 v[4:5], 3, v[10:11]
	v_mad_u64_u32 v[8:9], s[0:1], s3, v9, v[6:7]
	v_add_u32_e32 v11, 0x168, v35
	v_mad_u64_u32 v[9:10], s[0:1], s2, v11, 0
	v_add_co_u32_e64 v30, s[0:1], v12, v4
	v_mov_b32_e32 v6, v10
	v_addc_co_u32_e64 v31, s[0:1], v13, v5, s[0:1]
	v_lshlrev_b64 v[4:5], 3, v[7:8]
	v_mad_u64_u32 v[6:7], s[0:1], s3, v11, v[6:7]
	v_add_u32_e32 v11, 0x1a4, v35
	v_mad_u64_u32 v[7:8], s[0:1], s2, v11, 0
	v_add_co_u32_e64 v32, s[0:1], v12, v4
	v_mov_b32_e32 v10, v6
	v_mov_b32_e32 v6, v8
	v_addc_co_u32_e64 v33, s[0:1], v13, v5, s[0:1]
	v_lshlrev_b64 v[4:5], 3, v[9:10]
	v_mad_u64_u32 v[8:9], s[0:1], s3, v11, v[6:7]
	v_add_u32_e32 v11, 0x1e0, v35
	v_mad_u64_u32 v[9:10], s[0:1], s2, v11, 0
	v_add_co_u32_e64 v37, s[0:1], v12, v4
	v_mov_b32_e32 v6, v10
	v_addc_co_u32_e64 v38, s[0:1], v13, v5, s[0:1]
	v_lshlrev_b64 v[4:5], 3, v[7:8]
	v_mad_u64_u32 v[6:7], s[0:1], s3, v11, v[6:7]
	v_add_u32_e32 v11, 0x21c, v35
	v_mad_u64_u32 v[7:8], s[0:1], s2, v11, 0
	v_add_co_u32_e64 v39, s[0:1], v12, v4
	v_mov_b32_e32 v10, v6
	v_mov_b32_e32 v6, v8
	v_addc_co_u32_e64 v40, s[0:1], v13, v5, s[0:1]
	v_lshlrev_b64 v[4:5], 3, v[9:10]
	v_mad_u64_u32 v[8:9], s[0:1], s3, v11, v[6:7]
	v_add_co_u32_e64 v41, s[0:1], v12, v4
	v_addc_co_u32_e64 v42, s[0:1], v13, v5, s[0:1]
	v_lshlrev_b64 v[4:5], 3, v[7:8]
	v_add_co_u32_e64 v43, s[0:1], v12, v4
	v_addc_co_u32_e64 v44, s[0:1], v13, v5, s[0:1]
	global_load_dwordx2 v[4:5], v[2:3], off
	global_load_dwordx2 v[6:7], v[24:25], off
	;; [unrolled: 1-line block ×10, first 2 shown]
.LBB0_13:
	s_or_b64 exec, exec, s[4:5]
	s_waitcnt vmcnt(3)
	v_add_f32_e32 v3, v16, v22
	v_fma_f32 v26, -0.5, v3, v4
	v_sub_f32_e32 v3, v20, v22
	s_waitcnt vmcnt(1)
	v_sub_f32_e32 v24, v18, v16
	v_add_f32_e32 v28, v24, v3
	v_add_f32_e32 v3, v18, v20
	;; [unrolled: 1-line block ×3, first 2 shown]
	v_fmac_f32_e32 v4, -0.5, v3
	v_sub_f32_e32 v27, v23, v17
	v_mov_b32_e32 v29, v4
	v_sub_f32_e32 v3, v22, v20
	v_sub_f32_e32 v24, v16, v18
	v_fmac_f32_e32 v29, 0x3f737871, v27
	v_sub_f32_e32 v30, v21, v19
	v_fmac_f32_e32 v4, 0xbf737871, v27
	v_add_f32_e32 v3, v24, v3
	v_fmac_f32_e32 v29, 0xbf167918, v30
	v_fmac_f32_e32 v4, 0x3f167918, v30
	;; [unrolled: 1-line block ×4, first 2 shown]
	v_sub_f32_e32 v3, v14, v10
	s_waitcnt vmcnt(0)
	v_sub_f32_e32 v24, v12, v8
	v_add_f32_e32 v31, v24, v3
	v_add_f32_e32 v3, v8, v10
	;; [unrolled: 1-line block ×3, first 2 shown]
	v_fma_f32 v39, -0.5, v3, v6
	v_add_f32_e32 v3, v14, v6
	v_fmac_f32_e32 v6, -0.5, v24
	v_sub_f32_e32 v32, v11, v9
	v_mov_b32_e32 v41, v6
	v_sub_f32_e32 v24, v10, v14
	v_sub_f32_e32 v25, v8, v12
	v_fmac_f32_e32 v41, 0x3f737871, v32
	v_sub_f32_e32 v33, v15, v13
	v_fmac_f32_e32 v6, 0xbf737871, v32
	v_add_f32_e32 v2, v22, v2
	v_add_f32_e32 v24, v25, v24
	v_fmac_f32_e32 v41, 0xbf167918, v33
	v_fmac_f32_e32 v6, 0x3f167918, v33
	v_add_f32_e32 v2, v16, v2
	v_fmac_f32_e32 v41, 0x3e9e377a, v24
	v_fmac_f32_e32 v6, 0x3e9e377a, v24
	v_sub_f32_e32 v24, v15, v11
	v_sub_f32_e32 v25, v13, v9
	v_add_f32_e32 v44, v18, v2
	v_add_f32_e32 v2, v10, v3
	;; [unrolled: 1-line block ×3, first 2 shown]
	v_sub_f32_e32 v24, v11, v15
	v_sub_f32_e32 v25, v9, v13
	v_add_f32_e32 v2, v8, v2
	v_add_f32_e32 v24, v25, v24
	v_add_f32_e32 v25, v13, v15
	v_add_f32_e32 v46, v12, v2
	v_add_f32_e32 v2, v9, v11
	v_fma_f32 v42, -0.5, v25, v7
	v_sub_f32_e32 v38, v10, v8
	v_fma_f32 v8, -0.5, v2, v7
	v_mov_b32_e32 v43, v42
	v_sub_f32_e32 v40, v14, v12
	v_mov_b32_e32 v14, v8
	v_fmac_f32_e32 v43, 0xbf737871, v38
	v_fmac_f32_e32 v42, 0x3f737871, v38
	v_mov_b32_e32 v10, v39
	v_fmac_f32_e32 v14, 0x3f737871, v40
	v_fmac_f32_e32 v43, 0x3f167918, v40
	;; [unrolled: 1-line block ×3, first 2 shown]
	v_mov_b32_e32 v45, v26
	v_fmac_f32_e32 v10, 0xbf737871, v33
	v_fmac_f32_e32 v14, 0x3f167918, v38
	;; [unrolled: 1-line block ×12, first 2 shown]
	v_mul_f32_e32 v47, 0xbf167918, v14
	v_mul_f32_e32 v48, 0xbf737871, v43
	;; [unrolled: 1-line block ×3, first 2 shown]
	v_fmac_f32_e32 v26, 0x3f737871, v30
	v_fmac_f32_e32 v39, 0x3f167918, v32
	;; [unrolled: 1-line block ×7, first 2 shown]
	v_mul_u32_u24_e32 v12, 10, v35
	v_fmac_f32_e32 v26, 0x3f167918, v27
	v_fmac_f32_e32 v39, 0x3e9e377a, v31
	v_mul_f32_e32 v27, 0xbf167918, v8
	v_add_f32_e32 v2, v46, v44
	v_add_f32_e32 v3, v45, v47
	;; [unrolled: 1-line block ×4, first 2 shown]
	v_lshl_add_u32 v12, v12, 2, 0
	v_fmac_f32_e32 v26, 0x3e9e377a, v28
	v_fmac_f32_e32 v27, 0xbf4f1bbd, v39
	s_movk_i32 s0, 0xffdc
	ds_write2_b64 v12, v[2:3], v[24:25] offset1:1
	v_add_f32_e32 v24, v26, v27
	v_sub_f32_e32 v27, v26, v27
	v_sub_f32_e32 v26, v4, v49
	v_mad_i32_i24 v4, v35, s0, v12
	v_sub_f32_e32 v2, v45, v47
	v_sub_f32_e32 v3, v29, v48
	;; [unrolled: 1-line block ×3, first 2 shown]
	v_add_u32_e32 v28, 0x200, v4
	v_add_u32_e32 v29, 0x400, v4
	ds_write2_b64 v12, v[24:25], v[2:3] offset0:2 offset1:3
	ds_write_b64 v12, v[26:27] offset:32
	s_waitcnt lgkmcnt(0)
	; wave barrier
	s_waitcnt lgkmcnt(0)
	ds_read2_b32 v[24:25], v4 offset1:100
	ds_read2_b32 v[32:33], v28 offset0:72 offset1:172
	ds_read2_b32 v[28:29], v29 offset0:144 offset1:244
	v_mul_i32_i24_e32 v4, 0xffffffdc, v35
	s_mov_b32 s7, 0x3f737871
	s_mov_b32 s6, 0x3f167918
	v_cmp_gt_u32_e64 s[0:1], 40, v35
	v_add_u32_e32 v38, v12, v4
	v_lshl_add_u32 v37, v36, 2, 0
                                        ; implicit-def: $vgpr40
                                        ; implicit-def: $vgpr31
	s_and_saveexec_b64 s[4:5], s[0:1]
	s_cbranch_execz .LBB0_15
; %bb.14:
	v_add_u32_e32 v2, 0x200, v38
	v_add_u32_e32 v3, 0x400, v38
	ds_read2_b32 v[30:31], v3 offset0:104 offset1:204
	ds_read2_b32 v[3:4], v2 offset0:32 offset1:132
	ds_read_b32 v2, v37
	ds_read_b32 v40, v38 offset:2240
	s_waitcnt lgkmcnt(3)
	v_mov_b32_e32 v27, v30
	s_waitcnt lgkmcnt(2)
	v_mov_b32_e32 v26, v4
.LBB0_15:
	s_or_b64 exec, exec, s[4:5]
	v_add_f32_e32 v30, v17, v23
	v_fma_f32 v30, -0.5, v30, v5
	v_sub_f32_e32 v18, v20, v18
	v_mov_b32_e32 v20, v30
	v_fmac_f32_e32 v20, 0x3f737871, v18
	v_sub_f32_e32 v16, v22, v16
	v_sub_f32_e32 v22, v21, v23
	;; [unrolled: 1-line block ×3, first 2 shown]
	v_fmac_f32_e32 v30, 0xbf737871, v18
	v_fmac_f32_e32 v20, 0x3f167918, v16
	v_add_f32_e32 v22, v44, v22
	v_fmac_f32_e32 v30, 0xbf167918, v16
	v_fmac_f32_e32 v20, 0x3e9e377a, v22
	;; [unrolled: 1-line block ×3, first 2 shown]
	v_add_f32_e32 v22, v19, v21
	v_add_f32_e32 v4, v21, v5
	v_fmac_f32_e32 v5, -0.5, v22
	v_add_f32_e32 v4, v23, v4
	v_mov_b32_e32 v22, v5
	v_add_f32_e32 v4, v17, v4
	v_fmac_f32_e32 v22, 0xbf737871, v16
	v_sub_f32_e32 v21, v23, v21
	v_sub_f32_e32 v17, v17, v19
	v_fmac_f32_e32 v5, 0x3f737871, v16
	v_add_f32_e32 v7, v15, v7
	v_fmac_f32_e32 v22, 0x3f167918, v18
	v_add_f32_e32 v17, v17, v21
	;; [unrolled: 2-line block ×3, first 2 shown]
	v_fmac_f32_e32 v22, 0x3e9e377a, v17
	v_fmac_f32_e32 v5, 0x3e9e377a, v17
	v_add_f32_e32 v7, v9, v7
	v_mul_f32_e32 v9, 0x3f167918, v10
	v_mul_f32_e32 v17, 0x3f737871, v41
	;; [unrolled: 1-line block ×3, first 2 shown]
	v_add_f32_e32 v4, v19, v4
	v_add_f32_e32 v7, v13, v7
	v_fmac_f32_e32 v9, 0x3f4f1bbd, v14
	v_fmac_f32_e32 v17, 0x3e9e377a, v43
	v_fma_f32 v18, v6, s7, -v11
	v_mul_f32_e32 v6, 0x3f4f1bbd, v8
	v_add_f32_e32 v13, v7, v4
	v_add_f32_e32 v14, v20, v9
	;; [unrolled: 1-line block ×4, first 2 shown]
	v_fma_f32 v19, v39, s6, -v6
	v_add_f32_e32 v15, v30, v19
	v_sub_f32_e32 v16, v4, v7
	v_sub_f32_e32 v6, v20, v9
	;; [unrolled: 1-line block ×5, first 2 shown]
	s_waitcnt lgkmcnt(0)
	; wave barrier
	s_waitcnt lgkmcnt(0)
	ds_write2_b64 v12, v[13:14], v[10:11] offset1:1
	ds_write2_b64 v12, v[15:16], v[6:7] offset0:2 offset1:3
	ds_write_b64 v12, v[8:9] offset:32
	v_add_u32_e32 v10, 0x200, v38
	s_waitcnt lgkmcnt(0)
	; wave barrier
	s_waitcnt lgkmcnt(0)
	ds_read2_b32 v[14:15], v10 offset0:72 offset1:172
	v_add_u32_e32 v10, 0x400, v38
	ds_read2_b32 v[4:5], v38 offset1:100
	ds_read2_b32 v[10:11], v10 offset0:144 offset1:244
                                        ; implicit-def: $vgpr39
                                        ; implicit-def: $vgpr13
	s_and_saveexec_b64 s[4:5], s[0:1]
	s_cbranch_execz .LBB0_17
; %bb.16:
	v_add_u32_e32 v6, 0x200, v38
	v_add_u32_e32 v7, 0x400, v38
	ds_read2_b32 v[12:13], v7 offset0:104 offset1:204
	ds_read2_b32 v[7:8], v6 offset0:32 offset1:132
	ds_read_b32 v6, v37
	ds_read_b32 v39, v38 offset:2240
	s_waitcnt lgkmcnt(3)
	v_mov_b32_e32 v9, v12
.LBB0_17:
	s_or_b64 exec, exec, s[4:5]
	s_movk_i32 s4, 0xcd
	v_mul_lo_u16_sdwa v12, v35, s4 dst_sel:DWORD dst_unused:UNUSED_PAD src0_sel:BYTE_0 src1_sel:DWORD
	v_lshrrev_b16_e32 v57, 11, v12
	v_mul_lo_u16_e32 v12, 10, v57
	v_sub_u16_e32 v58, v35, v12
	v_mov_b32_e32 v17, 5
	v_mul_u32_u24_sdwa v12, v58, v17 dst_sel:DWORD dst_unused:UNUSED_PAD src0_sel:BYTE_0 src1_sel:DWORD
	v_lshlrev_b32_e32 v12, 3, v12
	v_mul_lo_u16_sdwa v16, v36, s4 dst_sel:DWORD dst_unused:UNUSED_PAD src0_sel:BYTE_0 src1_sel:DWORD
	global_load_dwordx4 v[18:21], v12, s[8:9]
	global_load_dwordx4 v[41:44], v12, s[8:9] offset:16
	global_load_dwordx2 v[53:54], v12, s[8:9] offset:32
	v_lshrrev_b16_e32 v12, 11, v16
	v_mul_lo_u16_e32 v16, 10, v12
	v_sub_u16_e32 v16, v36, v16
	v_mul_u32_u24_sdwa v17, v16, v17 dst_sel:DWORD dst_unused:UNUSED_PAD src0_sel:BYTE_0 src1_sel:DWORD
	v_lshlrev_b32_e32 v17, 3, v17
	global_load_dwordx4 v[45:48], v17, s[8:9]
	global_load_dwordx4 v[49:52], v17, s[8:9] offset:16
	global_load_dwordx2 v[55:56], v17, s[8:9] offset:32
	s_waitcnt lgkmcnt(0)
	; wave barrier
	s_waitcnt vmcnt(5) lgkmcnt(0)
	v_mul_f32_e32 v17, v5, v19
	v_mul_f32_e32 v22, v25, v19
	;; [unrolled: 1-line block ×4, first 2 shown]
	s_waitcnt vmcnt(4)
	v_mul_f32_e32 v36, v15, v42
	v_mul_f32_e32 v42, v33, v42
	;; [unrolled: 1-line block ×3, first 2 shown]
	v_fmac_f32_e32 v17, v25, v18
	v_fma_f32 v5, v5, v18, -v22
	s_waitcnt vmcnt(3)
	v_mul_f32_e32 v18, v29, v54
	v_mul_f32_e32 v44, v28, v44
	v_mul_f32_e32 v59, v11, v54
	v_fmac_f32_e32 v19, v32, v20
	v_fma_f32 v23, v14, v20, -v23
	s_waitcnt vmcnt(2)
	v_mul_f32_e32 v30, v7, v46
	v_mul_f32_e32 v20, v3, v46
	v_fmac_f32_e32 v36, v33, v41
	s_waitcnt vmcnt(1)
	v_mul_f32_e32 v32, v9, v50
	v_fma_f32 v25, v15, v41, -v42
	v_fmac_f32_e32 v21, v28, v43
	s_waitcnt vmcnt(0)
	v_mul_f32_e32 v33, v39, v56
	v_fma_f32 v28, v11, v53, -v18
	v_mul_f32_e32 v14, v8, v48
	v_mul_f32_e32 v22, v26, v48
	;; [unrolled: 1-line block ×4, first 2 shown]
	v_fmac_f32_e32 v59, v29, v53
	v_fmac_f32_e32 v30, v3, v45
	v_fma_f32 v11, v7, v45, -v20
	v_fmac_f32_e32 v32, v27, v49
	v_fmac_f32_e32 v33, v40, v55
	v_add_f32_e32 v3, v24, v19
	v_add_f32_e32 v7, v19, v21
	v_add_f32_e32 v27, v25, v28
	v_fma_f32 v10, v10, v43, -v44
	v_mul_f32_e32 v42, v31, v52
	v_mul_f32_e32 v43, v40, v56
	v_fmac_f32_e32 v14, v26, v47
	v_fma_f32 v20, v8, v47, -v22
	v_fmac_f32_e32 v15, v31, v51
	v_add_f32_e32 v8, v17, v36
	v_add_f32_e32 v26, v36, v59
	v_sub_f32_e32 v31, v36, v59
	v_add_f32_e32 v36, v32, v33
	v_add_f32_e32 v40, v3, v21
	v_fmac_f32_e32 v24, -0.5, v7
	v_fma_f32 v3, -0.5, v27, v5
	v_fma_f32 v18, v9, v49, -v41
	v_sub_f32_e32 v9, v23, v10
	v_sub_f32_e32 v29, v25, v28
	v_add_f32_e32 v41, v8, v59
	v_fmac_f32_e32 v17, -0.5, v26
	v_fma_f32 v26, -0.5, v36, v30
	v_mov_b32_e32 v36, v24
	v_mov_b32_e32 v8, v3
	v_fmac_f32_e32 v3, 0xbf5db3d7, v31
	v_fmac_f32_e32 v24, 0x3f5db3d7, v9
	v_mov_b32_e32 v7, v17
	v_fmac_f32_e32 v17, 0x3f5db3d7, v29
	v_fmac_f32_e32 v36, 0xbf5db3d7, v9
	v_mul_f32_e32 v9, 0xbf5db3d7, v3
	v_fma_f32 v22, v13, v51, -v42
	v_fma_f32 v13, v39, v55, -v43
	v_fmac_f32_e32 v8, 0x3f5db3d7, v31
	v_fmac_f32_e32 v9, -0.5, v17
	v_add_f32_e32 v42, v40, v41
	v_sub_f32_e32 v40, v40, v41
	v_fmac_f32_e32 v7, 0xbf5db3d7, v29
	v_mul_f32_e32 v29, 0xbf5db3d7, v8
	v_add_f32_e32 v41, v24, v9
	v_sub_f32_e32 v43, v24, v9
	v_add_f32_e32 v9, v18, v13
	v_fmac_f32_e32 v29, 0.5, v7
	v_fma_f32 v24, -0.5, v9, v11
	v_add_f32_e32 v44, v36, v29
	v_sub_f32_e32 v36, v36, v29
	v_sub_f32_e32 v9, v32, v33
	v_mov_b32_e32 v29, v24
	v_sub_f32_e32 v39, v18, v13
	v_mov_b32_e32 v27, v26
	v_fmac_f32_e32 v29, 0x3f5db3d7, v9
	v_fmac_f32_e32 v24, 0xbf5db3d7, v9
	v_mov_b32_e32 v9, 2
	v_fmac_f32_e32 v27, 0xbf5db3d7, v39
	v_fmac_f32_e32 v26, 0x3f5db3d7, v39
	v_mul_u32_u24_e32 v31, 0xf0, v57
	v_lshlrev_b32_sdwa v39, v9, v58 dst_sel:DWORD dst_unused:UNUSED_PAD src0_sel:DWORD src1_sel:BYTE_0
	v_add3_u32 v31, 0, v31, v39
	ds_write2_b32 v31, v42, v44 offset1:10
	ds_write2_b32 v31, v41, v40 offset0:20 offset1:30
	ds_write2_b32 v31, v36, v43 offset0:40 offset1:50
	s_and_saveexec_b64 s[4:5], s[0:1]
	s_cbranch_execz .LBB0_19
; %bb.18:
	v_add_f32_e32 v36, v14, v15
	v_fma_f32 v36, -0.5, v36, v2
	v_sub_f32_e32 v39, v20, v22
	v_mov_b32_e32 v40, v36
	v_add_f32_e32 v2, v2, v14
	v_add_f32_e32 v30, v30, v32
	v_fmac_f32_e32 v40, 0x3f5db3d7, v39
	v_fmac_f32_e32 v36, 0xbf5db3d7, v39
	v_mul_f32_e32 v39, 0xbf5db3d7, v29
	v_add_f32_e32 v2, v2, v15
	v_add_f32_e32 v30, v30, v33
	v_mul_f32_e32 v41, 0xbf5db3d7, v24
	v_fmac_f32_e32 v39, 0.5, v27
	v_sub_f32_e32 v32, v2, v30
	v_add_f32_e32 v2, v2, v30
	v_mul_u32_u24_e32 v30, 0xf0, v12
	v_lshlrev_b32_sdwa v9, v9, v16 dst_sel:DWORD dst_unused:UNUSED_PAD src0_sel:DWORD src1_sel:BYTE_0
	v_fmac_f32_e32 v41, -0.5, v26
	v_sub_f32_e32 v43, v36, v39
	v_add_f32_e32 v36, v36, v39
	v_add3_u32 v9, 0, v30, v9
	v_sub_f32_e32 v42, v40, v41
	v_add_f32_e32 v33, v40, v41
	ds_write2_b32 v9, v2, v36 offset1:10
	ds_write2_b32 v9, v33, v32 offset0:20 offset1:30
	ds_write2_b32 v9, v43, v42 offset0:40 offset1:50
.LBB0_19:
	s_or_b64 exec, exec, s[4:5]
	v_add_f32_e32 v9, v23, v10
	v_add_f32_e32 v2, v4, v23
	v_fmac_f32_e32 v4, -0.5, v9
	v_add_f32_e32 v2, v2, v10
	v_sub_f32_e32 v9, v19, v21
	v_mov_b32_e32 v10, v4
	v_add_f32_e32 v5, v5, v25
	v_mul_f32_e32 v8, 0.5, v8
	v_mul_f32_e32 v3, -0.5, v3
	v_fmac_f32_e32 v10, 0x3f5db3d7, v9
	v_fmac_f32_e32 v4, 0xbf5db3d7, v9
	v_add_f32_e32 v5, v5, v28
	v_fmac_f32_e32 v8, 0x3f5db3d7, v7
	v_fmac_f32_e32 v3, 0x3f5db3d7, v17
	v_add_u32_e32 v9, 0x400, v38
	v_add_f32_e32 v21, v2, v5
	v_add_f32_e32 v23, v10, v8
	;; [unrolled: 1-line block ×3, first 2 shown]
	v_sub_f32_e32 v28, v2, v5
	v_sub_f32_e32 v30, v10, v8
	;; [unrolled: 1-line block ×3, first 2 shown]
	s_waitcnt lgkmcnt(0)
	; wave barrier
	s_waitcnt lgkmcnt(0)
	ds_read2_b32 v[2:3], v38 offset1:120
	ds_read2_b32 v[4:5], v38 offset0:180 offset1:240
	ds_read2_b32 v[7:8], v9 offset0:44 offset1:104
	ds_read2_b32 v[9:10], v9 offset0:164 offset1:224
	ds_read_b32 v17, v37
	ds_read_b32 v19, v38 offset:2160
	s_waitcnt lgkmcnt(0)
	; wave barrier
	s_waitcnt lgkmcnt(0)
	ds_write2_b32 v31, v21, v23 offset1:10
	ds_write2_b32 v31, v25, v28 offset0:20 offset1:30
	ds_write2_b32 v31, v30, v32 offset0:40 offset1:50
	s_and_saveexec_b64 s[4:5], s[0:1]
	s_cbranch_execz .LBB0_21
; %bb.20:
	v_add_f32_e32 v21, v6, v20
	v_add_f32_e32 v20, v20, v22
	v_fmac_f32_e32 v6, -0.5, v20
	v_sub_f32_e32 v14, v14, v15
	v_mov_b32_e32 v15, v6
	v_fmac_f32_e32 v15, 0x3f5db3d7, v14
	v_fmac_f32_e32 v6, 0xbf5db3d7, v14
	v_mul_f32_e32 v14, 0.5, v29
	v_fmac_f32_e32 v14, 0x3f5db3d7, v27
	v_add_f32_e32 v11, v11, v18
	v_add_f32_e32 v18, v15, v14
	v_sub_f32_e32 v14, v15, v14
	v_mov_b32_e32 v15, 2
	v_add_f32_e32 v21, v21, v22
	v_add_f32_e32 v11, v11, v13
	v_mul_f32_e32 v20, -0.5, v24
	v_mul_u32_u24_e32 v12, 0xf0, v12
	v_lshlrev_b32_sdwa v15, v15, v16 dst_sel:DWORD dst_unused:UNUSED_PAD src0_sel:DWORD src1_sel:BYTE_0
	v_add_f32_e32 v13, v21, v11
	v_fmac_f32_e32 v20, 0x3f5db3d7, v26
	v_add3_u32 v12, 0, v12, v15
	v_add_f32_e32 v22, v6, v20
	v_sub_f32_e32 v11, v21, v11
	v_sub_f32_e32 v6, v6, v20
	ds_write2_b32 v12, v13, v18 offset1:10
	ds_write2_b32 v12, v22, v11 offset0:20 offset1:30
	ds_write2_b32 v12, v14, v6 offset0:40 offset1:50
.LBB0_21:
	s_or_b64 exec, exec, s[4:5]
	s_waitcnt lgkmcnt(0)
	; wave barrier
	s_waitcnt lgkmcnt(0)
	s_and_saveexec_b64 s[0:1], vcc
	s_cbranch_execz .LBB0_23
; %bb.22:
	v_mul_u32_u24_e32 v6, 9, v35
	v_lshlrev_b32_e32 v6, 3, v6
	global_load_dwordx4 v[11:14], v6, s[8:9] offset:400
	global_load_dwordx4 v[20:23], v6, s[8:9] offset:416
	;; [unrolled: 1-line block ×4, first 2 shown]
	global_load_dwordx2 v[15:16], v6, s[8:9] offset:464
	ds_read2_b32 v[32:33], v38 offset1:120
	ds_read2_b32 v[35:36], v38 offset0:180 offset1:240
	v_add_u32_e32 v6, 0x400, v38
	ds_read_b32 v18, v38 offset:2160
	ds_read_b32 v41, v37
	ds_read2_b32 v[37:38], v6 offset0:164 offset1:224
	ds_read2_b32 v[39:40], v6 offset0:44 offset1:104
	s_waitcnt vmcnt(4)
	v_mul_f32_e32 v6, v3, v14
	s_waitcnt vmcnt(3)
	v_mul_f32_e32 v42, v5, v23
	s_waitcnt vmcnt(2)
	v_mul_f32_e32 v43, v10, v27
	s_waitcnt vmcnt(1)
	v_mul_f32_e32 v44, v8, v31
	s_waitcnt lgkmcnt(5)
	v_mul_f32_e32 v14, v33, v14
	s_waitcnt lgkmcnt(1)
	v_mul_f32_e32 v27, v38, v27
	v_mul_f32_e32 v23, v36, v23
	s_waitcnt lgkmcnt(0)
	v_mul_f32_e32 v31, v40, v31
	v_mul_f32_e32 v45, v4, v20
	;; [unrolled: 1-line block ×3, first 2 shown]
	s_waitcnt vmcnt(0)
	v_mul_f32_e32 v47, v19, v15
	v_mul_f32_e32 v48, v9, v24
	;; [unrolled: 1-line block ×3, first 2 shown]
	v_fma_f32 v33, v33, v13, -v6
	v_fma_f32 v36, v36, v22, -v42
	v_fma_f32 v38, v38, v26, -v43
	v_fma_f32 v40, v40, v30, -v44
	v_mul_f32_e32 v9, v9, v25
	v_fmac_f32_e32 v14, v3, v13
	v_fmac_f32_e32 v45, v35, v21
	;; [unrolled: 1-line block ×5, first 2 shown]
	v_fma_f32 v3, v35, v20, -v4
	v_sub_f32_e32 v4, v33, v36
	v_sub_f32_e32 v6, v38, v40
	v_mul_f32_e32 v49, v17, v11
	v_mul_f32_e32 v19, v19, v16
	;; [unrolled: 1-line block ×3, first 2 shown]
	v_fma_f32 v9, v37, v24, -v9
	v_add_f32_e32 v29, v4, v6
	v_sub_f32_e32 v6, v46, v45
	v_sub_f32_e32 v37, v48, v47
	v_mul_f32_e32 v17, v17, v12
	v_fmac_f32_e32 v23, v5, v22
	v_fmac_f32_e32 v49, v41, v12
	v_fma_f32 v5, v18, v15, -v19
	v_fma_f32 v7, v39, v28, -v7
	v_add_f32_e32 v37, v6, v37
	v_add_f32_e32 v6, v45, v47
	v_fma_f32 v11, v41, v11, -v17
	v_sub_f32_e32 v13, v45, v46
	v_sub_f32_e32 v15, v47, v48
	v_add_f32_e32 v16, v46, v48
	v_sub_f32_e32 v19, v3, v7
	v_sub_f32_e32 v20, v5, v9
	v_add_f32_e32 v21, v7, v9
	v_fma_f32 v39, -0.5, v6, v49
	v_sub_f32_e32 v6, v7, v3
	v_sub_f32_e32 v42, v9, v5
	v_fmac_f32_e32 v27, v10, v26
	v_fmac_f32_e32 v31, v8, v30
	v_add_f32_e32 v8, v36, v40
	v_sub_f32_e32 v17, v3, v5
	v_sub_f32_e32 v25, v36, v33
	;; [unrolled: 1-line block ×3, first 2 shown]
	v_add_f32_e32 v13, v13, v15
	v_fma_f32 v15, -0.5, v16, v49
	v_add_f32_e32 v16, v19, v20
	v_fma_f32 v19, -0.5, v21, v11
	v_add_f32_e32 v42, v6, v42
	v_add_f32_e32 v6, v3, v5
	;; [unrolled: 1-line block ×3, first 2 shown]
	v_sub_f32_e32 v22, v45, v47
	v_fma_f32 v30, -0.5, v8, v32
	v_add_f32_e32 v8, v25, v26
	v_mov_b32_e32 v26, v19
	v_fma_f32 v43, -0.5, v6, v11
	v_add_f32_e32 v3, v7, v3
	v_sub_f32_e32 v24, v46, v48
	v_mov_b32_e32 v25, v15
	v_fmac_f32_e32 v26, 0xbf737871, v22
	v_mov_b32_e32 v44, v43
	v_fmac_f32_e32 v19, 0x3f737871, v22
	v_add_f32_e32 v3, v9, v3
	v_sub_f32_e32 v10, v14, v27
	v_sub_f32_e32 v18, v7, v9
	v_mov_b32_e32 v21, v30
	v_fmac_f32_e32 v25, 0x3f737871, v17
	v_fmac_f32_e32 v26, 0xbf167918, v24
	;; [unrolled: 1-line block ×5, first 2 shown]
	v_add_f32_e32 v24, v5, v3
	v_sub_f32_e32 v3, v14, v23
	v_sub_f32_e32 v5, v27, v31
	;; [unrolled: 1-line block ×3, first 2 shown]
	v_fmac_f32_e32 v21, 0xbf737871, v10
	v_fmac_f32_e32 v25, 0x3f167918, v18
	;; [unrolled: 1-line block ×4, first 2 shown]
	v_add_f32_e32 v9, v3, v5
	v_sub_f32_e32 v5, v23, v14
	v_sub_f32_e32 v7, v31, v27
	v_add_f32_e32 v28, v33, v38
	v_fmac_f32_e32 v21, 0xbf167918, v12
	v_fmac_f32_e32 v25, 0x3e9e377a, v13
	v_mul_f32_e32 v35, 0xbf4f1bbd, v26
	v_fmac_f32_e32 v30, 0x3f167918, v12
	v_add_f32_e32 v3, v23, v31
	v_mul_f32_e32 v26, 0xbf167918, v26
	v_add_f32_e32 v7, v5, v7
	v_add_f32_e32 v5, v14, v27
	v_fma_f32 v20, -0.5, v28, v32
	v_fmac_f32_e32 v21, 0x3e9e377a, v29
	v_fmac_f32_e32 v35, 0x3f167918, v25
	;; [unrolled: 1-line block ×3, first 2 shown]
	v_fma_f32 v29, -0.5, v3, v2
	v_fmac_f32_e32 v26, 0xbf4f1bbd, v25
	v_fma_f32 v25, -0.5, v5, v2
	v_add_f32_e32 v2, v2, v14
	v_mov_b32_e32 v28, v20
	v_add_f32_e32 v2, v2, v23
	v_fmac_f32_e32 v28, 0x3f737871, v12
	v_sub_f32_e32 v4, v21, v35
	v_fmac_f32_e32 v44, 0xbf167918, v22
	v_fmac_f32_e32 v20, 0xbf737871, v12
	;; [unrolled: 1-line block ×3, first 2 shown]
	v_add_f32_e32 v12, v33, v32
	v_sub_f32_e32 v11, v33, v38
	v_mov_b32_e32 v32, v29
	v_add_f32_e32 v2, v2, v31
	v_add_f32_e32 v14, v21, v35
	v_mad_u64_u32 v[21:22], s[0:1], s2, v34, 0
	v_fmac_f32_e32 v19, 0x3e9e377a, v16
	v_fmac_f32_e32 v32, 0x3f737871, v11
	v_sub_f32_e32 v16, v36, v40
	v_add_f32_e32 v27, v27, v2
	v_add_f32_e32 v2, v45, v49
	v_mov_b32_e32 v41, v39
	v_fmac_f32_e32 v32, 0x3f167918, v16
	v_add_f32_e32 v2, v46, v2
	v_fmac_f32_e32 v41, 0xbf737871, v18
	v_fmac_f32_e32 v39, 0x3f737871, v18
	;; [unrolled: 1-line block ×3, first 2 shown]
	v_add_f32_e32 v12, v36, v12
	v_fmac_f32_e32 v32, 0x3e9e377a, v9
	v_add_f32_e32 v2, v48, v2
	v_fmac_f32_e32 v41, 0x3f167918, v17
	v_fmac_f32_e32 v39, 0xbf167918, v17
	;; [unrolled: 1-line block ×4, first 2 shown]
	v_add_f32_e32 v12, v40, v12
	v_sub_f32_e32 v3, v32, v26
	v_mov_b32_e32 v33, v25
	v_fmac_f32_e32 v25, 0x3f737871, v16
	v_add_f32_e32 v31, v47, v2
	v_mov_b32_e32 v2, v22
	v_fmac_f32_e32 v41, 0x3e9e377a, v37
	v_fmac_f32_e32 v20, 0x3f167918, v10
	;; [unrolled: 1-line block ×3, first 2 shown]
	v_mul_f32_e32 v37, 0x3e9e377a, v43
	v_fmac_f32_e32 v15, 0x3e9e377a, v13
	v_mul_f32_e32 v13, 0x3f4f1bbd, v19
	v_add_f32_e32 v17, v38, v12
	v_fmac_f32_e32 v33, 0xbf737871, v16
	v_fmac_f32_e32 v25, 0xbf167918, v11
	v_mul_f32_e32 v38, 0xbf737871, v43
	v_mad_u64_u32 v[22:23], s[0:1], s3, v34, v[2:3]
	v_fmac_f32_e32 v28, 0xbf167918, v10
	v_fmac_f32_e32 v20, 0x3e9e377a, v8
	;; [unrolled: 1-line block ×8, first 2 shown]
	v_sub_f32_e32 v11, v27, v31
	v_add_f32_e32 v23, v27, v31
	v_add_u32_e32 v27, 60, v34
	v_fmac_f32_e32 v28, 0x3e9e377a, v8
	v_fmac_f32_e32 v44, 0x3e9e377a, v42
	v_sub_f32_e32 v8, v20, v37
	v_sub_f32_e32 v10, v30, v13
	;; [unrolled: 1-line block ×3, first 2 shown]
	v_fmac_f32_e32 v33, 0x3e9e377a, v7
	v_sub_f32_e32 v7, v25, v38
	v_add_f32_e32 v18, v20, v37
	v_add_f32_e32 v20, v30, v13
	;; [unrolled: 1-line block ×5, first 2 shown]
	v_mad_u64_u32 v[25:26], s[0:1], s2, v27, 0
	v_mul_f32_e32 v50, 0xbe9e377a, v44
	v_fmac_f32_e32 v50, 0x3f737871, v41
	v_fmac_f32_e32 v29, 0xbf167918, v16
	v_mul_f32_e32 v19, 0xbf167918, v19
	v_sub_f32_e32 v6, v28, v50
	v_fmac_f32_e32 v29, 0x3e9e377a, v9
	v_fmac_f32_e32 v19, 0x3f4f1bbd, v15
	v_add_f32_e32 v16, v28, v50
	v_mov_b32_e32 v2, s13
	v_add_co_u32_e32 v28, vcc, s12, v0
	v_sub_f32_e32 v9, v29, v19
	v_add_f32_e32 v19, v29, v19
	v_addc_co_u32_e32 v29, vcc, v2, v1, vcc
	v_lshlrev_b64 v[0:1], 3, v[21:22]
	v_mov_b32_e32 v2, v26
	v_mad_u64_u32 v[21:22], s[0:1], s3, v27, v[2:3]
	v_add_co_u32_e32 v0, vcc, v28, v0
	v_addc_co_u32_e32 v1, vcc, v29, v1, vcc
	global_store_dwordx2 v[0:1], v[23:24], off
	v_add_u32_e32 v23, 0x78, v34
	v_mov_b32_e32 v26, v21
	v_mad_u64_u32 v[21:22], s[0:1], s2, v23, 0
	v_lshlrev_b64 v[0:1], 3, v[25:26]
	v_add_u32_e32 v25, 0xb4, v34
	v_mov_b32_e32 v2, v22
	v_mad_u64_u32 v[22:23], s[0:1], s3, v23, v[2:3]
	v_mad_u64_u32 v[23:24], s[0:1], s2, v25, 0
	v_add_co_u32_e32 v0, vcc, v28, v0
	v_addc_co_u32_e32 v1, vcc, v29, v1, vcc
	v_mov_b32_e32 v2, v24
	global_store_dwordx2 v[0:1], v[19:20], off
	v_mad_u64_u32 v[19:20], s[0:1], s3, v25, v[2:3]
	v_lshlrev_b64 v[0:1], 3, v[21:22]
	v_add_u32_e32 v21, 0x12c, v34
	v_add_co_u32_e32 v0, vcc, v28, v0
	v_addc_co_u32_e32 v1, vcc, v29, v1, vcc
	v_mov_b32_e32 v24, v19
	v_add_u32_e32 v19, 0xf0, v34
	global_store_dwordx2 v[0:1], v[17:18], off
	v_mad_u64_u32 v[17:18], s[0:1], s2, v19, 0
	v_lshlrev_b64 v[0:1], 3, v[23:24]
	v_mul_f32_e32 v36, 0xbf737871, v44
	v_mov_b32_e32 v2, v18
	v_mad_u64_u32 v[18:19], s[0:1], s3, v19, v[2:3]
	v_mad_u64_u32 v[19:20], s[0:1], s2, v21, 0
	v_fmac_f32_e32 v36, 0xbe9e377a, v41
	v_add_co_u32_e32 v0, vcc, v28, v0
	v_add_f32_e32 v15, v33, v36
	v_addc_co_u32_e32 v1, vcc, v29, v1, vcc
	v_mov_b32_e32 v2, v20
	global_store_dwordx2 v[0:1], v[15:16], off
	v_mad_u64_u32 v[15:16], s[0:1], s3, v21, v[2:3]
	v_lshlrev_b64 v[0:1], 3, v[17:18]
	v_add_u32_e32 v17, 0x1a4, v34
	v_add_co_u32_e32 v0, vcc, v28, v0
	v_addc_co_u32_e32 v1, vcc, v29, v1, vcc
	v_mov_b32_e32 v20, v15
	v_add_u32_e32 v15, 0x168, v34
	global_store_dwordx2 v[0:1], v[13:14], off
	v_mad_u64_u32 v[13:14], s[0:1], s2, v15, 0
	v_lshlrev_b64 v[0:1], 3, v[19:20]
	v_sub_f32_e32 v5, v33, v36
	v_mov_b32_e32 v2, v14
	v_mad_u64_u32 v[14:15], s[0:1], s3, v15, v[2:3]
	v_mad_u64_u32 v[15:16], s[0:1], s2, v17, 0
	v_add_co_u32_e32 v0, vcc, v28, v0
	v_addc_co_u32_e32 v1, vcc, v29, v1, vcc
	v_mov_b32_e32 v2, v16
	global_store_dwordx2 v[0:1], v[11:12], off
	v_mad_u64_u32 v[11:12], s[0:1], s3, v17, v[2:3]
	v_lshlrev_b64 v[0:1], 3, v[13:14]
	v_add_u32_e32 v13, 0x21c, v34
	v_add_co_u32_e32 v0, vcc, v28, v0
	v_addc_co_u32_e32 v1, vcc, v29, v1, vcc
	v_mov_b32_e32 v16, v11
	v_add_u32_e32 v11, 0x1e0, v34
	global_store_dwordx2 v[0:1], v[9:10], off
	v_mad_u64_u32 v[9:10], s[0:1], s2, v11, 0
	v_lshlrev_b64 v[0:1], 3, v[15:16]
	v_mov_b32_e32 v2, v10
	v_mad_u64_u32 v[10:11], s[0:1], s3, v11, v[2:3]
	v_mad_u64_u32 v[11:12], s[0:1], s2, v13, 0
	v_add_co_u32_e32 v0, vcc, v28, v0
	v_addc_co_u32_e32 v1, vcc, v29, v1, vcc
	v_mov_b32_e32 v2, v12
	global_store_dwordx2 v[0:1], v[7:8], off
	v_mad_u64_u32 v[7:8], s[0:1], s3, v13, v[2:3]
	v_lshlrev_b64 v[0:1], 3, v[9:10]
	v_add_co_u32_e32 v0, vcc, v28, v0
	v_addc_co_u32_e32 v1, vcc, v29, v1, vcc
	v_mov_b32_e32 v12, v7
	global_store_dwordx2 v[0:1], v[5:6], off
	v_lshlrev_b64 v[0:1], 3, v[11:12]
	v_add_co_u32_e32 v0, vcc, v28, v0
	v_addc_co_u32_e32 v1, vcc, v29, v1, vcc
	global_store_dwordx2 v[0:1], v[3:4], off
.LBB0_23:
	s_endpgm
	.section	.rodata,"a",@progbits
	.p2align	6, 0x0
	.amdhsa_kernel fft_rtc_back_len600_factors_10_6_10_wgs_60_tpt_60_halfLds_sp_ip_CI_sbrr_dirReg
		.amdhsa_group_segment_fixed_size 0
		.amdhsa_private_segment_fixed_size 0
		.amdhsa_kernarg_size 88
		.amdhsa_user_sgpr_count 6
		.amdhsa_user_sgpr_private_segment_buffer 1
		.amdhsa_user_sgpr_dispatch_ptr 0
		.amdhsa_user_sgpr_queue_ptr 0
		.amdhsa_user_sgpr_kernarg_segment_ptr 1
		.amdhsa_user_sgpr_dispatch_id 0
		.amdhsa_user_sgpr_flat_scratch_init 0
		.amdhsa_user_sgpr_private_segment_size 0
		.amdhsa_uses_dynamic_stack 0
		.amdhsa_system_sgpr_private_segment_wavefront_offset 0
		.amdhsa_system_sgpr_workgroup_id_x 1
		.amdhsa_system_sgpr_workgroup_id_y 0
		.amdhsa_system_sgpr_workgroup_id_z 0
		.amdhsa_system_sgpr_workgroup_info 0
		.amdhsa_system_vgpr_workitem_id 0
		.amdhsa_next_free_vgpr 60
		.amdhsa_next_free_sgpr 24
		.amdhsa_reserve_vcc 1
		.amdhsa_reserve_flat_scratch 0
		.amdhsa_float_round_mode_32 0
		.amdhsa_float_round_mode_16_64 0
		.amdhsa_float_denorm_mode_32 3
		.amdhsa_float_denorm_mode_16_64 3
		.amdhsa_dx10_clamp 1
		.amdhsa_ieee_mode 1
		.amdhsa_fp16_overflow 0
		.amdhsa_exception_fp_ieee_invalid_op 0
		.amdhsa_exception_fp_denorm_src 0
		.amdhsa_exception_fp_ieee_div_zero 0
		.amdhsa_exception_fp_ieee_overflow 0
		.amdhsa_exception_fp_ieee_underflow 0
		.amdhsa_exception_fp_ieee_inexact 0
		.amdhsa_exception_int_div_zero 0
	.end_amdhsa_kernel
	.text
.Lfunc_end0:
	.size	fft_rtc_back_len600_factors_10_6_10_wgs_60_tpt_60_halfLds_sp_ip_CI_sbrr_dirReg, .Lfunc_end0-fft_rtc_back_len600_factors_10_6_10_wgs_60_tpt_60_halfLds_sp_ip_CI_sbrr_dirReg
                                        ; -- End function
	.section	.AMDGPU.csdata,"",@progbits
; Kernel info:
; codeLenInByte = 5992
; NumSgprs: 28
; NumVgprs: 60
; ScratchSize: 0
; MemoryBound: 0
; FloatMode: 240
; IeeeMode: 1
; LDSByteSize: 0 bytes/workgroup (compile time only)
; SGPRBlocks: 3
; VGPRBlocks: 14
; NumSGPRsForWavesPerEU: 28
; NumVGPRsForWavesPerEU: 60
; Occupancy: 4
; WaveLimiterHint : 1
; COMPUTE_PGM_RSRC2:SCRATCH_EN: 0
; COMPUTE_PGM_RSRC2:USER_SGPR: 6
; COMPUTE_PGM_RSRC2:TRAP_HANDLER: 0
; COMPUTE_PGM_RSRC2:TGID_X_EN: 1
; COMPUTE_PGM_RSRC2:TGID_Y_EN: 0
; COMPUTE_PGM_RSRC2:TGID_Z_EN: 0
; COMPUTE_PGM_RSRC2:TIDIG_COMP_CNT: 0
	.type	__hip_cuid_d05527b0bb4d791e,@object ; @__hip_cuid_d05527b0bb4d791e
	.section	.bss,"aw",@nobits
	.globl	__hip_cuid_d05527b0bb4d791e
__hip_cuid_d05527b0bb4d791e:
	.byte	0                               ; 0x0
	.size	__hip_cuid_d05527b0bb4d791e, 1

	.ident	"AMD clang version 19.0.0git (https://github.com/RadeonOpenCompute/llvm-project roc-6.4.0 25133 c7fe45cf4b819c5991fe208aaa96edf142730f1d)"
	.section	".note.GNU-stack","",@progbits
	.addrsig
	.addrsig_sym __hip_cuid_d05527b0bb4d791e
	.amdgpu_metadata
---
amdhsa.kernels:
  - .args:
      - .actual_access:  read_only
        .address_space:  global
        .offset:         0
        .size:           8
        .value_kind:     global_buffer
      - .offset:         8
        .size:           8
        .value_kind:     by_value
      - .actual_access:  read_only
        .address_space:  global
        .offset:         16
        .size:           8
        .value_kind:     global_buffer
      - .actual_access:  read_only
        .address_space:  global
        .offset:         24
        .size:           8
        .value_kind:     global_buffer
      - .offset:         32
        .size:           8
        .value_kind:     by_value
      - .actual_access:  read_only
        .address_space:  global
        .offset:         40
        .size:           8
        .value_kind:     global_buffer
      - .actual_access:  read_only
        .address_space:  global
        .offset:         48
        .size:           8
        .value_kind:     global_buffer
      - .offset:         56
        .size:           4
        .value_kind:     by_value
      - .actual_access:  read_only
        .address_space:  global
        .offset:         64
        .size:           8
        .value_kind:     global_buffer
      - .actual_access:  read_only
        .address_space:  global
        .offset:         72
        .size:           8
        .value_kind:     global_buffer
      - .address_space:  global
        .offset:         80
        .size:           8
        .value_kind:     global_buffer
    .group_segment_fixed_size: 0
    .kernarg_segment_align: 8
    .kernarg_segment_size: 88
    .language:       OpenCL C
    .language_version:
      - 2
      - 0
    .max_flat_workgroup_size: 60
    .name:           fft_rtc_back_len600_factors_10_6_10_wgs_60_tpt_60_halfLds_sp_ip_CI_sbrr_dirReg
    .private_segment_fixed_size: 0
    .sgpr_count:     28
    .sgpr_spill_count: 0
    .symbol:         fft_rtc_back_len600_factors_10_6_10_wgs_60_tpt_60_halfLds_sp_ip_CI_sbrr_dirReg.kd
    .uniform_work_group_size: 1
    .uses_dynamic_stack: false
    .vgpr_count:     60
    .vgpr_spill_count: 0
    .wavefront_size: 64
amdhsa.target:   amdgcn-amd-amdhsa--gfx906
amdhsa.version:
  - 1
  - 2
...

	.end_amdgpu_metadata
